;; amdgpu-corpus repo=zjin-lcf/HeCBench kind=compiled arch=gfx1030 opt=O3
	.amdgcn_target "amdgcn-amd-amdhsa--gfx1030"
	.amdhsa_code_object_version 6
	.text
	.protected	_Z9hellingerPKfS0_Pfiii ; -- Begin function _Z9hellingerPKfS0_Pfiii
	.globl	_Z9hellingerPKfS0_Pfiii
	.p2align	8
	.type	_Z9hellingerPKfS0_Pfiii,@function
_Z9hellingerPKfS0_Pfiii:                ; @_Z9hellingerPKfS0_Pfiii
; %bb.0:
	s_clause 0x1
	s_load_dword s8, s[4:5], 0x34
	s_load_dwordx4 s[0:3], s[4:5], 0x18
	s_waitcnt lgkmcnt(0)
	s_lshr_b32 s3, s8, 16
	s_and_b32 s8, s8, 0xffff
	v_mad_u64_u32 v[2:3], null, s6, s8, v[0:1]
	v_mad_u64_u32 v[0:1], null, s7, s3, v[1:2]
	v_cmp_gt_i32_e32 vcc_lo, s2, v2
	v_cmp_gt_i32_e64 s0, s0, v0
	s_and_b32 s0, vcc_lo, s0
	s_and_saveexec_b32 s3, s0
	s_cbranch_execz .LBB0_6
; %bb.1:
	s_load_dwordx2 s[8:9], s[4:5], 0x10
	s_cmp_lt_i32 s1, 1
	s_cbranch_scc1 .LBB0_4
; %bb.2:
	s_load_dwordx4 s[4:7], s[4:5], 0x0
	v_mul_lo_u32 v3, v0, s1
	v_mov_b32_e32 v1, 0
	v_mov_b32_e32 v5, v2
	v_ashrrev_i32_e32 v4, 31, v3
	v_lshlrev_b64 v[3:4], 2, v[3:4]
	s_waitcnt lgkmcnt(0)
	v_add_co_u32 v3, vcc_lo, s4, v3
	v_add_co_ci_u32_e64 v4, null, s5, v4, vcc_lo
.LBB0_3:                                ; =>This Inner Loop Header: Depth=1
	v_ashrrev_i32_e32 v6, 31, v5
	s_add_i32 s1, s1, -1
	s_cmp_eq_u32 s1, 0
	v_lshlrev_b64 v[6:7], 2, v[5:6]
	v_add_nc_u32_e32 v5, s2, v5
	v_add_co_u32 v6, vcc_lo, s6, v6
	v_add_co_ci_u32_e64 v7, null, s7, v7, vcc_lo
	global_load_dword v8, v[3:4], off
	global_load_dword v6, v[6:7], off
	s_waitcnt vmcnt(0)
	v_mul_f32_e32 v6, v8, v6
	v_mul_f32_e32 v7, 0x4f800000, v6
	v_cmp_gt_f32_e32 vcc_lo, 0xf800000, v6
	v_cndmask_b32_e32 v6, v6, v7, vcc_lo
	v_sqrt_f32_e32 v7, v6
	v_add_nc_u32_e32 v8, -1, v7
	v_add_nc_u32_e32 v9, 1, v7
	v_fma_f32 v10, -v8, v7, v6
	v_fma_f32 v11, -v9, v7, v6
	v_cmp_ge_f32_e64 s0, 0, v10
	v_cndmask_b32_e64 v7, v7, v8, s0
	v_cmp_lt_f32_e64 s0, 0, v11
	v_cndmask_b32_e64 v7, v7, v9, s0
	v_mul_f32_e32 v8, 0x37800000, v7
	v_cndmask_b32_e32 v7, v7, v8, vcc_lo
	v_cmp_class_f32_e64 vcc_lo, v6, 0x260
	v_cndmask_b32_e32 v6, v7, v6, vcc_lo
	v_add_co_u32 v3, vcc_lo, v3, 4
	v_add_co_ci_u32_e64 v4, null, 0, v4, vcc_lo
	v_add_f32_e32 v1, v1, v6
	s_cbranch_scc0 .LBB0_3
	s_branch .LBB0_5
.LBB0_4:
	v_mov_b32_e32 v1, 0
.LBB0_5:
	v_sub_f32_e32 v1, 1.0, v1
	v_cmp_lt_i32_e32 vcc_lo, -1, v1
	v_cndmask_b32_e64 v3, 0, 1.0, vcc_lo
	v_mul_f32_e32 v1, v1, v3
	v_mul_f32_e32 v3, 0x4f800000, v1
	v_cmp_gt_f32_e32 vcc_lo, 0xf800000, v1
	v_cndmask_b32_e32 v3, v1, v3, vcc_lo
	v_sqrt_f32_e32 v1, v3
	v_add_nc_u32_e32 v4, -1, v1
	v_add_nc_u32_e32 v5, 1, v1
	v_fma_f32 v6, -v4, v1, v3
	v_fma_f32 v7, -v5, v1, v3
	v_cmp_ge_f32_e64 s0, 0, v6
	v_cndmask_b32_e64 v4, v1, v4, s0
	v_cmp_lt_f32_e64 s0, 0, v7
	v_mad_u64_u32 v[0:1], null, v0, s2, v[2:3]
	v_cndmask_b32_e64 v2, v4, v5, s0
	v_ashrrev_i32_e32 v1, 31, v0
	v_mul_f32_e32 v4, 0x37800000, v2
	v_lshlrev_b64 v[0:1], 2, v[0:1]
	v_cndmask_b32_e32 v2, v2, v4, vcc_lo
	v_cmp_class_f32_e64 vcc_lo, v3, 0x260
	v_cndmask_b32_e32 v2, v2, v3, vcc_lo
	s_waitcnt lgkmcnt(0)
	v_add_co_u32 v0, vcc_lo, s8, v0
	v_add_co_ci_u32_e64 v1, null, s9, v1, vcc_lo
	global_store_dword v[0:1], v2, off
.LBB0_6:
	s_endpgm
	.section	.rodata,"a",@progbits
	.p2align	6, 0x0
	.amdhsa_kernel _Z9hellingerPKfS0_Pfiii
		.amdhsa_group_segment_fixed_size 0
		.amdhsa_private_segment_fixed_size 0
		.amdhsa_kernarg_size 296
		.amdhsa_user_sgpr_count 6
		.amdhsa_user_sgpr_private_segment_buffer 1
		.amdhsa_user_sgpr_dispatch_ptr 0
		.amdhsa_user_sgpr_queue_ptr 0
		.amdhsa_user_sgpr_kernarg_segment_ptr 1
		.amdhsa_user_sgpr_dispatch_id 0
		.amdhsa_user_sgpr_flat_scratch_init 0
		.amdhsa_user_sgpr_private_segment_size 0
		.amdhsa_wavefront_size32 1
		.amdhsa_uses_dynamic_stack 0
		.amdhsa_system_sgpr_private_segment_wavefront_offset 0
		.amdhsa_system_sgpr_workgroup_id_x 1
		.amdhsa_system_sgpr_workgroup_id_y 1
		.amdhsa_system_sgpr_workgroup_id_z 0
		.amdhsa_system_sgpr_workgroup_info 0
		.amdhsa_system_vgpr_workitem_id 1
		.amdhsa_next_free_vgpr 12
		.amdhsa_next_free_sgpr 10
		.amdhsa_reserve_vcc 1
		.amdhsa_reserve_flat_scratch 0
		.amdhsa_float_round_mode_32 0
		.amdhsa_float_round_mode_16_64 0
		.amdhsa_float_denorm_mode_32 3
		.amdhsa_float_denorm_mode_16_64 3
		.amdhsa_dx10_clamp 1
		.amdhsa_ieee_mode 1
		.amdhsa_fp16_overflow 0
		.amdhsa_workgroup_processor_mode 1
		.amdhsa_memory_ordered 1
		.amdhsa_forward_progress 1
		.amdhsa_shared_vgpr_count 0
		.amdhsa_exception_fp_ieee_invalid_op 0
		.amdhsa_exception_fp_denorm_src 0
		.amdhsa_exception_fp_ieee_div_zero 0
		.amdhsa_exception_fp_ieee_overflow 0
		.amdhsa_exception_fp_ieee_underflow 0
		.amdhsa_exception_fp_ieee_inexact 0
		.amdhsa_exception_int_div_zero 0
	.end_amdhsa_kernel
	.text
.Lfunc_end0:
	.size	_Z9hellingerPKfS0_Pfiii, .Lfunc_end0-_Z9hellingerPKfS0_Pfiii
                                        ; -- End function
	.set _Z9hellingerPKfS0_Pfiii.num_vgpr, 12
	.set _Z9hellingerPKfS0_Pfiii.num_agpr, 0
	.set _Z9hellingerPKfS0_Pfiii.numbered_sgpr, 10
	.set _Z9hellingerPKfS0_Pfiii.num_named_barrier, 0
	.set _Z9hellingerPKfS0_Pfiii.private_seg_size, 0
	.set _Z9hellingerPKfS0_Pfiii.uses_vcc, 1
	.set _Z9hellingerPKfS0_Pfiii.uses_flat_scratch, 0
	.set _Z9hellingerPKfS0_Pfiii.has_dyn_sized_stack, 0
	.set _Z9hellingerPKfS0_Pfiii.has_recursion, 0
	.set _Z9hellingerPKfS0_Pfiii.has_indirect_call, 0
	.section	.AMDGPU.csdata,"",@progbits
; Kernel info:
; codeLenInByte = 532
; TotalNumSgprs: 12
; NumVgprs: 12
; ScratchSize: 0
; MemoryBound: 0
; FloatMode: 240
; IeeeMode: 1
; LDSByteSize: 0 bytes/workgroup (compile time only)
; SGPRBlocks: 0
; VGPRBlocks: 1
; NumSGPRsForWavesPerEU: 12
; NumVGPRsForWavesPerEU: 12
; Occupancy: 16
; WaveLimiterHint : 0
; COMPUTE_PGM_RSRC2:SCRATCH_EN: 0
; COMPUTE_PGM_RSRC2:USER_SGPR: 6
; COMPUTE_PGM_RSRC2:TRAP_HANDLER: 0
; COMPUTE_PGM_RSRC2:TGID_X_EN: 1
; COMPUTE_PGM_RSRC2:TGID_Y_EN: 1
; COMPUTE_PGM_RSRC2:TGID_Z_EN: 0
; COMPUTE_PGM_RSRC2:TIDIG_COMP_CNT: 1
	.text
	.p2alignl 6, 3214868480
	.fill 48, 4, 3214868480
	.section	.AMDGPU.gpr_maximums,"",@progbits
	.set amdgpu.max_num_vgpr, 0
	.set amdgpu.max_num_agpr, 0
	.set amdgpu.max_num_sgpr, 0
	.text
	.type	__hip_cuid_bf59ada376e37f93,@object ; @__hip_cuid_bf59ada376e37f93
	.section	.bss,"aw",@nobits
	.globl	__hip_cuid_bf59ada376e37f93
__hip_cuid_bf59ada376e37f93:
	.byte	0                               ; 0x0
	.size	__hip_cuid_bf59ada376e37f93, 1

	.ident	"AMD clang version 22.0.0git (https://github.com/RadeonOpenCompute/llvm-project roc-7.2.4 26084 f58b06dce1f9c15707c5f808fd002e18c2accf7e)"
	.section	".note.GNU-stack","",@progbits
	.addrsig
	.addrsig_sym __hip_cuid_bf59ada376e37f93
	.amdgpu_metadata
---
amdhsa.kernels:
  - .args:
      - .actual_access:  read_only
        .address_space:  global
        .offset:         0
        .size:           8
        .value_kind:     global_buffer
      - .actual_access:  read_only
        .address_space:  global
        .offset:         8
        .size:           8
        .value_kind:     global_buffer
      - .actual_access:  write_only
        .address_space:  global
        .offset:         16
        .size:           8
        .value_kind:     global_buffer
      - .offset:         24
        .size:           4
        .value_kind:     by_value
      - .offset:         28
        .size:           4
        .value_kind:     by_value
      - .offset:         32
        .size:           4
        .value_kind:     by_value
      - .offset:         40
        .size:           4
        .value_kind:     hidden_block_count_x
      - .offset:         44
        .size:           4
        .value_kind:     hidden_block_count_y
      - .offset:         48
        .size:           4
        .value_kind:     hidden_block_count_z
      - .offset:         52
        .size:           2
        .value_kind:     hidden_group_size_x
      - .offset:         54
        .size:           2
        .value_kind:     hidden_group_size_y
      - .offset:         56
        .size:           2
        .value_kind:     hidden_group_size_z
      - .offset:         58
        .size:           2
        .value_kind:     hidden_remainder_x
      - .offset:         60
        .size:           2
        .value_kind:     hidden_remainder_y
      - .offset:         62
        .size:           2
        .value_kind:     hidden_remainder_z
      - .offset:         80
        .size:           8
        .value_kind:     hidden_global_offset_x
      - .offset:         88
        .size:           8
        .value_kind:     hidden_global_offset_y
      - .offset:         96
        .size:           8
        .value_kind:     hidden_global_offset_z
      - .offset:         104
        .size:           2
        .value_kind:     hidden_grid_dims
    .group_segment_fixed_size: 0
    .kernarg_segment_align: 8
    .kernarg_segment_size: 296
    .language:       OpenCL C
    .language_version:
      - 2
      - 0
    .max_flat_workgroup_size: 1024
    .name:           _Z9hellingerPKfS0_Pfiii
    .private_segment_fixed_size: 0
    .sgpr_count:     12
    .sgpr_spill_count: 0
    .symbol:         _Z9hellingerPKfS0_Pfiii.kd
    .uniform_work_group_size: 1
    .uses_dynamic_stack: false
    .vgpr_count:     12
    .vgpr_spill_count: 0
    .wavefront_size: 32
    .workgroup_processor_mode: 1
amdhsa.target:   amdgcn-amd-amdhsa--gfx1030
amdhsa.version:
  - 1
  - 2
...

	.end_amdgpu_metadata
